;; amdgpu-corpus repo=ROCm/rocFFT kind=compiled arch=gfx950 opt=O3
	.text
	.amdgcn_target "amdgcn-amd-amdhsa--gfx950"
	.amdhsa_code_object_version 6
	.protected	fft_rtc_back_len847_factors_11_7_11_wgs_231_tpt_77_halfLds_half_ip_CI_sbrr_dirReg ; -- Begin function fft_rtc_back_len847_factors_11_7_11_wgs_231_tpt_77_halfLds_half_ip_CI_sbrr_dirReg
	.globl	fft_rtc_back_len847_factors_11_7_11_wgs_231_tpt_77_halfLds_half_ip_CI_sbrr_dirReg
	.p2align	8
	.type	fft_rtc_back_len847_factors_11_7_11_wgs_231_tpt_77_halfLds_half_ip_CI_sbrr_dirReg,@function
fft_rtc_back_len847_factors_11_7_11_wgs_231_tpt_77_halfLds_half_ip_CI_sbrr_dirReg: ; @fft_rtc_back_len847_factors_11_7_11_wgs_231_tpt_77_halfLds_half_ip_CI_sbrr_dirReg
; %bb.0:
	s_load_dwordx2 s[12:13], s[0:1], 0x18
	s_load_dwordx4 s[4:7], s[0:1], 0x0
	s_load_dwordx2 s[10:11], s[0:1], 0x50
	v_mul_u32_u24_e32 v1, 0x354, v0
	v_lshrrev_b32_e32 v2, 16, v1
	s_waitcnt lgkmcnt(0)
	s_load_dwordx2 s[8:9], s[12:13], 0x0
	v_mad_u64_u32 v[2:3], s[2:3], s2, 3, v[2:3]
	v_mov_b32_e32 v6, 0
	v_mov_b32_e32 v3, v6
	v_cmp_lt_u64_e64 s[2:3], s[6:7], 2
	s_and_b64 vcc, exec, s[2:3]
	v_mov_b64_e32 v[4:5], 0
	v_mov_b64_e32 v[10:11], v[2:3]
	s_cbranch_vccnz .LBB0_8
; %bb.1:
	s_load_dwordx2 s[2:3], s[0:1], 0x10
	s_add_u32 s14, s12, 8
	s_addc_u32 s15, s13, 0
	s_mov_b64 s[16:17], 1
	v_mov_b64_e32 v[4:5], 0
	s_waitcnt lgkmcnt(0)
	s_add_u32 s18, s2, 8
	s_addc_u32 s19, s3, 0
	v_mov_b64_e32 v[8:9], v[2:3]
.LBB0_2:                                ; =>This Inner Loop Header: Depth=1
	s_load_dwordx2 s[20:21], s[18:19], 0x0
                                        ; implicit-def: $vgpr10_vgpr11
	s_waitcnt lgkmcnt(0)
	v_or_b32_e32 v7, s21, v9
	v_cmp_ne_u64_e32 vcc, 0, v[6:7]
	s_and_saveexec_b64 s[2:3], vcc
	s_xor_b64 s[22:23], exec, s[2:3]
	s_cbranch_execz .LBB0_4
; %bb.3:                                ;   in Loop: Header=BB0_2 Depth=1
	v_cvt_f32_u32_e32 v1, s20
	v_cvt_f32_u32_e32 v3, s21
	s_sub_u32 s2, 0, s20
	s_subb_u32 s3, 0, s21
	v_fmac_f32_e32 v1, 0x4f800000, v3
	v_rcp_f32_e32 v1, v1
	s_nop 0
	v_mul_f32_e32 v1, 0x5f7ffffc, v1
	v_mul_f32_e32 v3, 0x2f800000, v1
	v_trunc_f32_e32 v3, v3
	v_fmac_f32_e32 v1, 0xcf800000, v3
	v_cvt_u32_f32_e32 v3, v3
	v_cvt_u32_f32_e32 v1, v1
	v_mul_lo_u32 v7, s2, v3
	v_mul_hi_u32 v10, s2, v1
	v_mul_lo_u32 v11, s3, v1
	v_add_u32_e32 v7, v10, v7
	v_mul_lo_u32 v14, s2, v1
	v_add_u32_e32 v7, v7, v11
	v_mul_hi_u32 v10, v1, v14
	v_mul_hi_u32 v13, v1, v7
	v_mul_lo_u32 v12, v1, v7
	v_mov_b32_e32 v11, v6
	v_lshl_add_u64 v[10:11], v[10:11], 0, v[12:13]
	v_mul_hi_u32 v13, v3, v14
	v_mul_lo_u32 v14, v3, v14
	v_add_co_u32_e32 v10, vcc, v10, v14
	v_mul_hi_u32 v12, v3, v7
	s_nop 0
	v_addc_co_u32_e32 v10, vcc, v11, v13, vcc
	v_mov_b32_e32 v11, v6
	s_nop 0
	v_addc_co_u32_e32 v13, vcc, 0, v12, vcc
	v_mul_lo_u32 v12, v3, v7
	v_lshl_add_u64 v[10:11], v[10:11], 0, v[12:13]
	v_add_co_u32_e32 v1, vcc, v1, v10
	v_mul_hi_u32 v10, s2, v1
	s_nop 0
	v_addc_co_u32_e32 v3, vcc, v3, v11, vcc
	v_mul_lo_u32 v7, s2, v3
	v_add_u32_e32 v7, v10, v7
	v_mul_lo_u32 v10, s3, v1
	v_add_u32_e32 v7, v7, v10
	v_mul_lo_u32 v12, s2, v1
	v_mul_hi_u32 v15, v3, v12
	v_mul_lo_u32 v16, v3, v12
	v_mul_hi_u32 v11, v1, v7
	;; [unrolled: 2-line block ×3, first 2 shown]
	v_mov_b32_e32 v13, v6
	v_lshl_add_u64 v[10:11], v[12:13], 0, v[10:11]
	v_add_co_u32_e32 v10, vcc, v10, v16
	v_mul_hi_u32 v14, v3, v7
	s_nop 0
	v_addc_co_u32_e32 v10, vcc, v11, v15, vcc
	v_mul_lo_u32 v12, v3, v7
	s_nop 0
	v_addc_co_u32_e32 v13, vcc, 0, v14, vcc
	v_mov_b32_e32 v11, v6
	v_lshl_add_u64 v[10:11], v[10:11], 0, v[12:13]
	v_add_co_u32_e32 v1, vcc, v1, v10
	v_mul_hi_u32 v12, v8, v1
	s_nop 0
	v_addc_co_u32_e32 v3, vcc, v3, v11, vcc
	v_mad_u64_u32 v[10:11], s[2:3], v8, v3, 0
	v_mov_b32_e32 v13, v6
	v_lshl_add_u64 v[10:11], v[12:13], 0, v[10:11]
	v_mad_u64_u32 v[14:15], s[2:3], v9, v1, 0
	v_add_co_u32_e32 v1, vcc, v10, v14
	v_mad_u64_u32 v[12:13], s[2:3], v9, v3, 0
	s_nop 0
	v_addc_co_u32_e32 v10, vcc, v11, v15, vcc
	v_mov_b32_e32 v11, v6
	s_nop 0
	v_addc_co_u32_e32 v13, vcc, 0, v13, vcc
	v_lshl_add_u64 v[10:11], v[10:11], 0, v[12:13]
	v_mul_lo_u32 v1, s21, v10
	v_mul_lo_u32 v3, s20, v11
	v_mad_u64_u32 v[12:13], s[2:3], s20, v10, 0
	v_add3_u32 v1, v13, v3, v1
	v_sub_u32_e32 v3, v9, v1
	v_mov_b32_e32 v7, s21
	v_sub_co_u32_e32 v16, vcc, v8, v12
	v_lshl_add_u64 v[14:15], v[10:11], 0, 1
	s_nop 0
	v_subb_co_u32_e64 v3, s[2:3], v3, v7, vcc
	v_subrev_co_u32_e64 v7, s[2:3], s20, v16
	v_subb_co_u32_e32 v1, vcc, v9, v1, vcc
	s_nop 0
	v_subbrev_co_u32_e64 v3, s[2:3], 0, v3, s[2:3]
	v_cmp_le_u32_e64 s[2:3], s21, v3
	v_cmp_le_u32_e32 vcc, s21, v1
	s_nop 0
	v_cndmask_b32_e64 v12, 0, -1, s[2:3]
	v_cmp_le_u32_e64 s[2:3], s20, v7
	s_nop 1
	v_cndmask_b32_e64 v7, 0, -1, s[2:3]
	v_cmp_eq_u32_e64 s[2:3], s21, v3
	s_nop 1
	v_cndmask_b32_e64 v3, v12, v7, s[2:3]
	v_lshl_add_u64 v[12:13], v[10:11], 0, 2
	v_cmp_ne_u32_e64 s[2:3], 0, v3
	v_cndmask_b32_e64 v7, 0, -1, vcc
	v_cmp_le_u32_e32 vcc, s20, v16
	v_cndmask_b32_e64 v3, v15, v13, s[2:3]
	s_nop 0
	v_cndmask_b32_e64 v13, 0, -1, vcc
	v_cmp_eq_u32_e32 vcc, s21, v1
	s_nop 1
	v_cndmask_b32_e32 v1, v7, v13, vcc
	v_cmp_ne_u32_e32 vcc, 0, v1
	v_cndmask_b32_e64 v1, v14, v12, s[2:3]
	s_nop 0
	v_cndmask_b32_e32 v11, v11, v3, vcc
	v_cndmask_b32_e32 v10, v10, v1, vcc
.LBB0_4:                                ;   in Loop: Header=BB0_2 Depth=1
	s_andn2_saveexec_b64 s[2:3], s[22:23]
	s_cbranch_execz .LBB0_6
; %bb.5:                                ;   in Loop: Header=BB0_2 Depth=1
	v_cvt_f32_u32_e32 v1, s20
	s_sub_i32 s22, 0, s20
	v_mov_b32_e32 v11, v6
	v_rcp_iflag_f32_e32 v1, v1
	s_nop 0
	v_mul_f32_e32 v1, 0x4f7ffffe, v1
	v_cvt_u32_f32_e32 v1, v1
	v_mul_lo_u32 v3, s22, v1
	v_mul_hi_u32 v3, v1, v3
	v_add_u32_e32 v1, v1, v3
	v_mul_hi_u32 v1, v8, v1
	v_mul_lo_u32 v3, v1, s20
	v_sub_u32_e32 v3, v8, v3
	v_add_u32_e32 v7, 1, v1
	v_subrev_u32_e32 v10, s20, v3
	v_cmp_le_u32_e32 vcc, s20, v3
	s_nop 1
	v_cndmask_b32_e32 v3, v3, v10, vcc
	v_cndmask_b32_e32 v1, v1, v7, vcc
	v_add_u32_e32 v7, 1, v1
	v_cmp_le_u32_e32 vcc, s20, v3
	s_nop 1
	v_cndmask_b32_e32 v10, v1, v7, vcc
.LBB0_6:                                ;   in Loop: Header=BB0_2 Depth=1
	s_or_b64 exec, exec, s[2:3]
	v_mad_u64_u32 v[12:13], s[2:3], v10, s20, 0
	s_load_dwordx2 s[2:3], s[14:15], 0x0
	s_add_u32 s16, s16, 1
	v_mul_lo_u32 v1, v11, s20
	v_mul_lo_u32 v3, v10, s21
	s_addc_u32 s17, s17, 0
	v_add3_u32 v1, v13, v3, v1
	v_sub_co_u32_e32 v3, vcc, v8, v12
	s_add_u32 s14, s14, 8
	s_nop 0
	v_subb_co_u32_e32 v1, vcc, v9, v1, vcc
	s_addc_u32 s15, s15, 0
	v_mov_b64_e32 v[8:9], s[6:7]
	s_waitcnt lgkmcnt(0)
	v_mul_lo_u32 v1, s2, v1
	v_mul_lo_u32 v7, s3, v3
	v_mad_u64_u32 v[4:5], s[2:3], s2, v3, v[4:5]
	s_add_u32 s18, s18, 8
	v_cmp_ge_u64_e32 vcc, s[16:17], v[8:9]
	v_add3_u32 v5, v7, v5, v1
	s_addc_u32 s19, s19, 0
	s_cbranch_vccnz .LBB0_8
; %bb.7:                                ;   in Loop: Header=BB0_2 Depth=1
	v_mov_b64_e32 v[8:9], v[10:11]
	s_branch .LBB0_2
.LBB0_8:
	s_lshl_b64 s[2:3], s[6:7], 3
	s_add_u32 s2, s12, s2
	s_addc_u32 s3, s13, s3
	s_load_dwordx2 s[6:7], s[2:3], 0x0
	s_load_dwordx2 s[12:13], s[0:1], 0x20
	s_mov_b32 s2, 0x3531ded
                                        ; implicit-def: $vgpr8
	s_waitcnt lgkmcnt(0)
	v_mul_lo_u32 v1, s6, v11
	v_mul_lo_u32 v3, s7, v10
	v_mad_u64_u32 v[4:5], s[0:1], s6, v10, v[4:5]
	v_add3_u32 v5, v3, v5, v1
	v_mul_hi_u32 v1, v0, s2
	v_mul_u32_u24_e32 v1, 0x4d, v1
	v_cmp_gt_u64_e32 vcc, s[12:13], v[10:11]
	v_cmp_le_u64_e64 s[0:1], s[12:13], v[10:11]
	v_sub_u32_e32 v7, v0, v1
                                        ; implicit-def: $sgpr2
	s_and_saveexec_b64 s[6:7], s[0:1]
	s_xor_b64 s[0:1], exec, s[6:7]
; %bb.9:
	v_add_u32_e32 v8, 0x4d, v7
	s_mov_b32 s2, 0
; %bb.10:
	s_or_saveexec_b64 s[0:1], s[0:1]
	v_mov_b32_e32 v6, s2
	v_lshl_add_u64 v[0:1], v[4:5], 2, s[10:11]
	v_mov_b32_e32 v11, s2
                                        ; implicit-def: $vgpr36
                                        ; implicit-def: $vgpr28
                                        ; implicit-def: $vgpr35
                                        ; implicit-def: $vgpr27
                                        ; implicit-def: $vgpr32
                                        ; implicit-def: $vgpr24
                                        ; implicit-def: $vgpr30
                                        ; implicit-def: $vgpr23
                                        ; implicit-def: $vgpr29
                                        ; implicit-def: $vgpr22
                                        ; implicit-def: $vgpr33
                                        ; implicit-def: $vgpr25
                                        ; implicit-def: $vgpr38
                                        ; implicit-def: $vgpr31
                                        ; implicit-def: $vgpr40
                                        ; implicit-def: $vgpr37
                                        ; implicit-def: $vgpr41
                                        ; implicit-def: $vgpr39
                                        ; implicit-def: $vgpr34
                                        ; implicit-def: $vgpr26
	s_xor_b64 exec, exec, s[0:1]
	s_cbranch_execz .LBB0_12
; %bb.11:
	v_mad_u64_u32 v[4:5], s[2:3], s8, v7, 0
	v_mov_b32_e32 v6, v5
	v_mad_u64_u32 v[8:9], s[2:3], s9, v7, v[6:7]
	v_mov_b32_e32 v5, v8
	v_add_u32_e32 v8, 0x4d, v7
	v_mad_u64_u32 v[10:11], s[2:3], s8, v8, 0
	v_mov_b32_e32 v6, v11
	v_mad_u64_u32 v[12:13], s[2:3], s9, v8, v[6:7]
	v_add_u32_e32 v3, 0x9a, v7
	v_mov_b32_e32 v11, v12
	v_mad_u64_u32 v[12:13], s[2:3], s8, v3, 0
	v_mov_b32_e32 v6, v13
	v_mad_u64_u32 v[14:15], s[2:3], s9, v3, v[6:7]
	v_add_u32_e32 v3, 0xe7, v7
	v_mov_b32_e32 v13, v14
	;; [unrolled: 5-line block ×6, first 2 shown]
	v_mad_u64_u32 v[22:23], s[2:3], s8, v3, 0
	v_mov_b32_e32 v6, v23
	v_mad_u64_u32 v[24:25], s[2:3], s9, v3, v[6:7]
	v_lshl_add_u64 v[10:11], v[10:11], 2, v[0:1]
	v_mov_b32_e32 v23, v24
	v_add_u32_e32 v3, 0x268, v7
	v_lshl_add_u64 v[12:13], v[12:13], 2, v[0:1]
	v_lshl_add_u64 v[14:15], v[14:15], 2, v[0:1]
	;; [unrolled: 1-line block ×6, first 2 shown]
	global_load_dword v28, v[10:11], off
	global_load_dword v27, v[12:13], off
	;; [unrolled: 1-line block ×7, first 2 shown]
	v_mad_u64_u32 v[10:11], s[2:3], s8, v3, 0
	v_mov_b32_e32 v6, v11
	v_mad_u64_u32 v[12:13], s[2:3], s9, v3, v[6:7]
	v_add_u32_e32 v3, 0x2b5, v7
	v_mov_b32_e32 v11, v12
	v_mad_u64_u32 v[12:13], s[2:3], s8, v3, 0
	v_mov_b32_e32 v6, v13
	v_mad_u64_u32 v[14:15], s[2:3], s9, v3, v[6:7]
	v_add_u32_e32 v3, 0x302, v7
	v_mov_b32_e32 v13, v14
	v_mad_u64_u32 v[14:15], s[2:3], s8, v3, 0
	v_mov_b32_e32 v6, v15
	v_mad_u64_u32 v[16:17], s[2:3], s9, v3, v[6:7]
	v_lshl_add_u64 v[10:11], v[10:11], 2, v[0:1]
	v_mov_b32_e32 v15, v16
	v_lshl_add_u64 v[12:13], v[12:13], 2, v[0:1]
	v_lshl_add_u64 v[14:15], v[14:15], 2, v[0:1]
	global_load_dword v31, v[10:11], off
	global_load_dword v37, v[12:13], off
	;; [unrolled: 1-line block ×3, first 2 shown]
	v_lshl_add_u64 v[4:5], v[4:5], 2, v[0:1]
	global_load_dword v11, v[4:5], off
	v_mov_b32_e32 v6, v7
	s_waitcnt vmcnt(10)
	v_lshrrev_b32_e32 v36, 16, v28
	s_waitcnt vmcnt(9)
	v_lshrrev_b32_e32 v35, 16, v27
	;; [unrolled: 2-line block ×10, first 2 shown]
.LBB0_12:
	s_or_b64 exec, exec, s[0:1]
	s_mov_b32 s0, 0xaaaaaaab
	v_mul_hi_u32 v3, v2, s0
	v_lshrrev_b32_e32 v3, 1, v3
	v_lshl_add_u32 v3, v3, 1, v3
	v_sub_u32_e32 v2, v2, v3
	v_mul_u32_u24_e32 v9, 0x34f, v2
	s_waitcnt vmcnt(0)
	v_add_f16_e32 v2, v28, v11
	v_add_f16_e32 v2, v27, v2
	;; [unrolled: 1-line block ×9, first 2 shown]
	v_sub_f16_e32 v5, v36, v41
	v_add_f16_e32 v4, v39, v2
	v_add_f16_e32 v2, v28, v39
	v_mul_f16_e32 v3, 0xb482, v5
	s_mov_b32 s22, 0xbbad
	v_sub_f16_e32 v13, v35, v40
	v_fma_f16 v10, v2, s22, v3
	v_add_f16_e32 v12, v27, v37
	v_mul_f16_e32 v14, 0x3853, v13
	s_movk_i32 s23, 0x3abb
	v_add_f16_e32 v10, v10, v11
	v_fma_f16 v3, v2, s22, -v3
	v_fma_f16 v15, v12, s23, v14
	v_add_f16_e32 v3, v3, v11
	v_add_f16_e32 v10, v15, v10
	v_fma_f16 v14, v12, s23, -v14
	v_sub_f16_e32 v15, v32, v38
	v_add_f16_e32 v3, v14, v3
	v_add_f16_e32 v14, v24, v31
	v_mul_f16_e32 v16, 0xba0c, v15
	s_mov_b32 s24, 0xb93d
	v_fma_f16 v17, v14, s24, v16
	v_add_f16_e32 v10, v17, v10
	v_fma_f16 v16, v14, s24, -v16
	v_sub_f16_e32 v17, v30, v33
	v_add_f16_e32 v3, v16, v3
	v_add_f16_e32 v16, v23, v25
	v_mul_f16_e32 v18, 0x3b47, v17
	s_movk_i32 s25, 0x36a6
	s_mov_b32 s6, 0x3abb36a6
	v_fma_f16 v19, v16, s25, v18
	v_fma_f16 v18, v16, s25, -v18
	v_pk_mul_f16 v21, v2, s6 op_sel_hi:[0,1]
	s_mov_b32 s0, 0xb853bb47
	s_mov_b32 s15, 0x36a6b93d
	v_add_f16_e32 v18, v18, v3
	v_pk_fma_f16 v3, v5, s0, v21 op_sel_hi:[0,1,1] neg_lo:[1,0,0] neg_hi:[1,0,0]
	v_pk_mul_f16 v43, v12, s15 op_sel_hi:[0,1]
	s_mov_b32 s16, 0xbb47ba0c
	s_mov_b32 s11, 0xb08ebbad
	v_pk_add_f16 v3, v3, v11 op_sel_hi:[1,0]
	v_pk_fma_f16 v42, v13, s16, v43 op_sel_hi:[0,1,1] neg_lo:[1,0,0] neg_hi:[1,0,0]
	v_pk_mul_f16 v44, v14, s11 op_sel_hi:[0,1]
	s_mov_b32 s1, 0xbbeb3482
	s_mov_b32 s17, 0xb93db08e
	v_add_f16_e32 v10, v19, v10
	v_add_f16_e32 v19, v22, v26
	v_pk_add_f16 v3, v42, v3
	v_pk_fma_f16 v42, v15, s1, v44 op_sel_hi:[0,1,1] neg_lo:[1,0,0] neg_hi:[1,0,0]
	v_pk_mul_f16 v45, v16, s17 op_sel_hi:[0,1]
	s_mov_b32 s19, 0xba0c3beb
	s_mov_b32 s18, 0xbbad3abb
	;; [unrolled: 1-line block ×3, first 2 shown]
	v_sub_f16_e32 v20, v29, v34
	v_pk_add_f16 v3, v42, v3
	v_pk_fma_f16 v42, v17, s19, v45 op_sel_hi:[0,1,1] neg_lo:[1,0,0] neg_hi:[1,0,0]
	v_pk_mul_f16 v46, v19, s18 op_sel_hi:[0,1]
	s_mov_b32 s2, 0xb4823853
	v_pk_mul_f16 v47, v2, s10 op_sel_hi:[0,1]
	s_mov_b32 s3, 0xbbebba0c
	s_mov_b32 s12, 0xbbadb08e
	v_pk_add_f16 v3, v42, v3
	v_pk_fma_f16 v42, v20, s2, v46 op_sel_hi:[0,1,1] neg_lo:[1,0,0] neg_hi:[1,0,0]
	v_pk_fma_f16 v2, v5, s3, v47 op_sel_hi:[0,1,1] neg_lo:[1,0,0] neg_hi:[1,0,0]
	v_pk_mul_f16 v12, v12, s12 op_sel_hi:[0,1]
	s_mov_b32 s13, 0x34823beb
	s_mov_b32 s20, 0x36a63abb
	v_pk_add_f16 v3, v42, v3
	v_pk_add_f16 v2, v2, v11 op_sel_hi:[1,0]
	v_pk_fma_f16 v42, v13, s13, v12 op_sel_hi:[0,1,1] neg_lo:[1,0,0] neg_hi:[1,0,0]
	v_pk_mul_f16 v14, v14, s20 op_sel_hi:[0,1]
	s_mov_b32 s26, 0x3b47b853
	s_mov_b32 s14, 0x3abbbbad
	v_pk_add_f16 v2, v42, v2
	v_pk_fma_f16 v42, v15, s26, v14 op_sel_hi:[0,1,1] neg_lo:[1,0,0] neg_hi:[1,0,0]
	v_pk_mul_f16 v16, v16, s14 op_sel_hi:[0,1]
	s_mov_b32 s27, 0xb853b482
	s_mov_b32 s21, 0xb93d36a6
	v_pk_fma_f16 v21, v5, s0, v21 op_sel_hi:[0,1,1]
	v_pk_fma_f16 v5, v5, s3, v47 op_sel_hi:[0,1,1]
	v_pk_add_f16 v2, v42, v2
	v_pk_fma_f16 v42, v17, s27, v16 op_sel_hi:[0,1,1] neg_lo:[1,0,0] neg_hi:[1,0,0]
	v_pk_mul_f16 v48, v19, s21 op_sel_hi:[0,1]
	s_mov_b32 s28, 0xba0c3b47
	v_pk_add_f16 v21, v21, v11 op_sel_hi:[1,0]
	v_pk_fma_f16 v43, v13, s16, v43 op_sel_hi:[0,1,1]
	v_pk_add_f16 v5, v5, v11 op_sel_hi:[1,0]
	v_pk_fma_f16 v12, v13, s13, v12 op_sel_hi:[0,1,1]
	v_pk_add_f16 v2, v42, v2
	v_pk_fma_f16 v42, v20, s28, v48 op_sel_hi:[0,1,1] neg_lo:[1,0,0] neg_hi:[1,0,0]
	v_pk_add_f16 v21, v43, v21
	v_pk_fma_f16 v43, v15, s1, v44 op_sel_hi:[0,1,1]
	v_pk_add_f16 v5, v12, v5
	v_pk_fma_f16 v12, v15, s26, v14 op_sel_hi:[0,1,1]
	v_pk_add_f16 v2, v42, v2
	v_mul_f16_e32 v42, 0xbbeb, v20
	s_mov_b32 s7, 0xb08e
	v_pk_add_f16 v21, v43, v21
	v_pk_fma_f16 v43, v17, s19, v45 op_sel_hi:[0,1,1]
	v_pk_add_f16 v5, v12, v5
	v_pk_fma_f16 v12, v17, s27, v16 op_sel_hi:[0,1,1]
	v_fma_f16 v49, v19, s7, v42
	v_fma_f16 v19, v19, s7, -v42
	v_pk_add_f16 v21, v43, v21
	v_pk_fma_f16 v43, v20, s2, v46 op_sel_hi:[0,1,1]
	v_pk_add_f16 v5, v12, v5
	v_pk_fma_f16 v12, v20, s28, v48 op_sel_hi:[0,1,1]
	v_add_f16_e32 v10, v49, v10
	v_add_f16_e32 v18, v19, v18
	v_lshl_add_u32 v19, v9, 1, 0
	v_pk_add_f16 v21, v43, v21
	v_pk_add_f16 v5, v12, v5
	s_mov_b32 s13, 0xffff
	v_mad_u32_u24 v42, v7, 22, v19
	v_bfi_b32 v13, s13, v21, v5
	v_pack_b32_f16 v14, v5, v10
	v_bfi_b32 v12, s13, v4, v21
	v_lshl_add_u32 v5, v7, 1, v19
	s_movk_i32 s0, 0xffec
	ds_write_b96 v42, v[12:14]
	ds_write_b16 v42, v18 offset:12
	ds_write_b64 v42, v[2:3] offset:14
	s_waitcnt lgkmcnt(0)
	s_barrier
	v_mad_i32_i24 v4, v7, s0, v42
	ds_read_u16 v12, v5
	ds_read_u16 v21, v4 offset:242
	ds_read_u16 v20, v4 offset:484
	;; [unrolled: 1-line block ×6, first 2 shown]
	v_cmp_gt_u32_e64 s[0:1], 44, v7
	v_lshlrev_b32_e32 v10, 1, v8
	v_lshlrev_b32_e32 v9, 1, v9
                                        ; implicit-def: $vgpr17
                                        ; implicit-def: $vgpr15
                                        ; implicit-def: $vgpr19
	s_and_saveexec_b64 s[2:3], s[0:1]
	s_cbranch_execz .LBB0_14
; %bb.13:
	v_add3_u32 v2, 0, v10, v9
	ds_read_u16 v2, v2
	ds_read_u16 v3, v4 offset:396
	ds_read_u16 v43, v4 offset:638
	;; [unrolled: 1-line block ×6, first 2 shown]
	s_mov_b32 s26, 0x5040100
	s_waitcnt lgkmcnt(5)
	v_perm_b32 v2, v3, v2, s26
	s_waitcnt lgkmcnt(3)
	v_perm_b32 v3, v44, v43, s26
.LBB0_14:
	s_or_b64 exec, exec, s[2:3]
	v_add_f16_sdwa v43, v36, v11 dst_sel:DWORD dst_unused:UNUSED_PAD src0_sel:DWORD src1_sel:WORD_1
	v_add_f16_e32 v43, v35, v43
	v_add_f16_e32 v43, v32, v43
	;; [unrolled: 1-line block ×7, first 2 shown]
	v_sub_f16_e32 v28, v28, v39
	v_add_f16_e32 v43, v40, v43
	v_add_f16_e32 v36, v36, v41
	v_mul_f16_e32 v39, 0xb482, v28
	v_sub_f16_e32 v27, v27, v37
	v_add_f16_e32 v43, v41, v43
	v_fma_f16 v41, v36, s22, -v39
	v_fma_f16 v39, v36, s22, v39
	v_add_f16_e32 v35, v35, v40
	v_mul_f16_e32 v37, 0x3853, v27
	v_sub_f16_e32 v31, v24, v31
	v_add_f16_sdwa v41, v41, v11 dst_sel:DWORD dst_unused:UNUSED_PAD src0_sel:DWORD src1_sel:WORD_1
	v_add_f16_sdwa v39, v39, v11 dst_sel:DWORD dst_unused:UNUSED_PAD src0_sel:DWORD src1_sel:WORD_1
	v_fma_f16 v40, v35, s23, -v37
	v_fma_f16 v37, v35, s23, v37
	v_add_f16_e32 v32, v32, v38
	v_mul_f16_e32 v24, 0xba0c, v31
	v_sub_f16_e32 v23, v23, v25
	v_add_f16_e32 v40, v40, v41
	v_add_f16_e32 v37, v37, v39
	v_fma_f16 v38, v32, s24, -v24
	v_fma_f16 v24, v32, s24, v24
	v_add_f16_e32 v30, v30, v33
	v_mul_f16_e32 v25, 0x3b47, v23
	s_mov_b32 s3, 0xbbebb853
	v_add_f16_e32 v38, v38, v40
	v_add_f16_e32 v24, v24, v37
	v_fma_f16 v33, v30, s25, -v25
	v_fma_f16 v25, v30, s25, v25
	v_add_f16_e32 v29, v29, v34
	s_mov_b32 s2, 0xb08e3abb
	v_pk_mul_f16 v34, v28, s3 op_sel_hi:[0,1]
	s_mov_b32 s3, 0x3482bb47
	v_add_f16_e32 v33, v33, v38
	v_add_f16_e32 v25, v25, v24
	v_sub_f16_e32 v22, v22, v26
	v_pk_mul_f16 v26, v36, s2 op_sel_hi:[0,1]
	v_pk_fma_f16 v24, v36, s2, v34 op_sel_hi:[0,1,1]
	s_mov_b32 s2, 0xbbad36a6
	v_pk_mul_f16 v38, v27, s3 op_sel_hi:[0,1]
	s_mov_b32 s3, 0x3b47bbeb
	v_pk_add_f16 v24, v24, v11 op_sel:[0,1]
	v_pk_mul_f16 v37, v35, s2 op_sel_hi:[0,1]
	v_pk_fma_f16 v39, v35, s2, v38 op_sel_hi:[0,1,1]
	s_mov_b32 s2, 0x36a6b08e
	v_pk_mul_f16 v40, v31, s3 op_sel_hi:[0,1]
	s_mov_b32 s3, 0xb853ba0c
	v_pk_add_f16 v24, v39, v24
	v_pk_mul_f16 v39, v32, s2 op_sel_hi:[0,1]
	v_pk_fma_f16 v41, v32, s2, v40 op_sel_hi:[0,1,1]
	s_mov_b32 s2, 0x3abbb93d
	v_pk_mul_f16 v44, v23, s3 op_sel_hi:[0,1]
	s_mov_b32 s3, 0xba0cb482
	v_pk_add_f16 v24, v41, v24
	v_pk_mul_f16 v41, v30, s2 op_sel_hi:[0,1]
	v_pk_fma_f16 v45, v30, s2, v44 op_sel_hi:[0,1,1]
	s_mov_b32 s2, 0xb93dbbad
	v_pk_mul_f16 v46, v22, s3 op_sel_hi:[0,1]
	v_pk_add_f16 v24, v45, v24
	v_pk_mul_f16 v45, v29, s2 op_sel_hi:[0,1]
	v_pk_fma_f16 v47, v29, s2, v46 op_sel_hi:[0,1,1]
	s_mov_b32 s2, 0x3482b853
	v_pk_mul_f16 v53, v31, s2 op_sel_hi:[0,1]
	s_mov_b32 s2, 0x3bebb482
	v_pk_mul_f16 v55, v23, s2 op_sel_hi:[0,1]
	;; [unrolled: 2-line block ×4, first 2 shown]
	v_pk_mul_f16 v28, v28, s2 op_sel_hi:[0,1]
	s_mov_b32 s2, 0x3a0c3b47
	v_pk_mul_f16 v51, v27, s19 op_sel_hi:[0,1]
	v_pk_fma_f16 v28, v36, s20, v28 op_sel_hi:[0,1,1]
	v_pk_mul_f16 v27, v27, s2 op_sel_hi:[0,1]
	v_pk_add_f16 v28, v28, v11 op_sel:[0,1]
	v_pk_fma_f16 v27, v35, s21, v27 op_sel_hi:[0,1,1]
	s_mov_b32 s2, 0xb4823beb
	v_pk_add_f16 v27, v27, v28
	v_pk_mul_f16 v28, v31, s2 op_sel_hi:[0,1]
	v_pk_add_f16 v24, v47, v24
	v_pk_mul_f16 v47, v36, s15 op_sel_hi:[0,1]
	v_pk_fma_f16 v28, v32, s12, v28 op_sel_hi:[0,1,1]
	v_pk_add_f16 v27, v28, v27
	v_alignbit_b32 v26, v47, v26, 16
	v_alignbit_b32 v28, v48, v34, 16
	v_pk_fma_f16 v49, v36, s15, v48 op_sel_hi:[0,1,1]
	v_pk_mul_f16 v50, v35, s17 op_sel_hi:[0,1]
	v_pk_add_f16 v26, v26, v28 neg_lo:[0,1] neg_hi:[0,1]
	v_pk_add_f16 v49, v49, v11 op_sel:[0,1]
	v_pk_fma_f16 v52, v35, s17, v51 op_sel_hi:[0,1,1]
	v_pk_add_f16 v11, v26, v11 op_sel:[0,1]
	v_alignbit_b32 v26, v50, v37, 16
	v_alignbit_b32 v28, v51, v38, 16
	v_pk_add_f16 v49, v52, v49
	v_pk_mul_f16 v52, v32, s18 op_sel_hi:[0,1]
	v_pk_add_f16 v26, v26, v28 neg_lo:[0,1] neg_hi:[0,1]
	v_pk_fma_f16 v54, v32, s18, v53 op_sel_hi:[0,1,1]
	s_mov_b32 s2, 0xbbeb3a0c
	v_pk_add_f16 v11, v26, v11
	v_alignbit_b32 v26, v52, v39, 16
	v_alignbit_b32 v28, v53, v40, 16
	v_pk_add_f16 v49, v54, v49
	v_pk_mul_f16 v54, v30, s11 op_sel_hi:[0,1]
	v_pk_mul_f16 v23, v23, s2 op_sel_hi:[0,1]
	v_pk_add_f16 v26, v26, v28 neg_lo:[0,1] neg_hi:[0,1]
	v_pk_fma_f16 v56, v30, s11, v55 op_sel_hi:[0,1,1]
	v_pk_fma_f16 v23, v30, s10, v23 op_sel_hi:[0,1,1]
	s_mov_b32 s2, 0xb8533482
	v_pk_add_f16 v11, v26, v11
	v_alignbit_b32 v26, v54, v41, 16
	v_alignbit_b32 v28, v55, v44, 16
	v_pk_add_f16 v49, v56, v49
	v_pk_mul_f16 v56, v29, s6 op_sel_hi:[0,1]
	v_pk_add_f16 v23, v23, v27
	v_pk_mul_f16 v27, v22, s2 op_sel_hi:[0,1]
	v_pk_add_f16 v26, v26, v28 neg_lo:[0,1] neg_hi:[0,1]
	v_pk_fma_f16 v27, v29, s14, v27 op_sel_hi:[0,1,1]
	v_pk_add_f16 v11, v26, v11
	v_alignbit_b32 v26, v56, v45, 16
	v_alignbit_b32 v28, v57, v46, 16
	v_pk_add_f16 v23, v27, v23
	v_pk_fma_f16 v27, v29, s6, v57 op_sel_hi:[0,1,1]
	v_pk_add_f16 v26, v26, v28 neg_lo:[0,1] neg_hi:[0,1]
	v_mul_f16_e32 v22, 0xbbeb, v22
	v_pk_add_f16 v26, v26, v11
	v_pk_add_f16 v11, v27, v49
	v_fma_f16 v27, v29, s7, -v22
	v_add_f16_e32 v27, v27, v33
	v_fma_f16 v22, v29, s7, v22
	v_add_f16_e32 v22, v22, v25
	v_alignbit_b32 v28, v27, v26, 16
	v_alignbit_b32 v27, v26, v23, 16
	v_pack_b32_f16 v26, v43, v23
	s_waitcnt lgkmcnt(0)
	s_barrier
	ds_write_b96 v42, v[26:28]
	ds_write_b16 v42, v22 offset:12
	v_bfi_b32 v22, s13, v11, v24
	v_alignbit_b32 v23, v24, v11, 16
	ds_write_b64 v42, v[22:23] offset:14
	s_waitcnt lgkmcnt(0)
	s_barrier
	ds_read_u16 v23, v5
	ds_read_u16 v32, v4 offset:242
	ds_read_u16 v30, v4 offset:484
	;; [unrolled: 1-line block ×6, first 2 shown]
                                        ; implicit-def: $vgpr29
                                        ; implicit-def: $vgpr33
                                        ; implicit-def: $vgpr31
	s_and_saveexec_b64 s[2:3], s[0:1]
	s_cbranch_execz .LBB0_16
; %bb.15:
	v_add3_u32 v11, 0, v10, v9
	ds_read_u16 v11, v11
	ds_read_u16 v22, v4 offset:396
	ds_read_u16 v24, v4 offset:638
	;; [unrolled: 1-line block ×6, first 2 shown]
	s_mov_b32 s6, 0x5040100
	s_waitcnt lgkmcnt(4)
	v_perm_b32 v11, v24, v11, s6
	s_waitcnt lgkmcnt(3)
	v_perm_b32 v24, v22, v34, s6
.LBB0_16:
	s_or_b64 exec, exec, s[2:3]
	s_movk_i32 s2, 0x75
	v_mul_lo_u16_sdwa v22, v7, s2 dst_sel:DWORD dst_unused:UNUSED_PAD src0_sel:BYTE_0 src1_sel:DWORD
	v_sub_u16_sdwa v34, v7, v22 dst_sel:DWORD dst_unused:UNUSED_PAD src0_sel:DWORD src1_sel:BYTE_1
	v_lshrrev_b16_e32 v34, 1, v34
	v_and_b32_e32 v34, 0x7f, v34
	v_add_u16_sdwa v22, v34, v22 dst_sel:DWORD dst_unused:UNUSED_PAD src0_sel:DWORD src1_sel:BYTE_1
	v_lshrrev_b16_e32 v48, 3, v22
	v_mul_lo_u16_e32 v22, 11, v48
	v_sub_u16_e32 v49, v7, v22
	v_mov_b32_e32 v34, 6
	v_mul_u32_u24_sdwa v22, v49, v34 dst_sel:DWORD dst_unused:UNUSED_PAD src0_sel:BYTE_0 src1_sel:DWORD
	v_lshlrev_b32_e32 v22, 2, v22
	global_load_dwordx4 v[36:39], v22, s[4:5]
	global_load_dwordx2 v[40:41], v22, s[4:5] offset:16
	v_mul_lo_u16_sdwa v22, v8, s2 dst_sel:DWORD dst_unused:UNUSED_PAD src0_sel:BYTE_0 src1_sel:DWORD
	v_sub_u16_sdwa v35, v8, v22 dst_sel:DWORD dst_unused:UNUSED_PAD src0_sel:DWORD src1_sel:BYTE_1
	v_lshrrev_b16_e32 v35, 1, v35
	v_and_b32_e32 v35, 0x7f, v35
	v_add_u16_sdwa v22, v35, v22 dst_sel:DWORD dst_unused:UNUSED_PAD src0_sel:DWORD src1_sel:BYTE_1
	v_lshrrev_b16_e32 v22, 3, v22
	v_mul_lo_u16_e32 v35, 11, v22
	v_sub_u16_e32 v8, v8, v35
	v_mul_u32_u24_sdwa v34, v8, v34 dst_sel:DWORD dst_unused:UNUSED_PAD src0_sel:BYTE_0 src1_sel:DWORD
	v_lshlrev_b32_e32 v34, 2, v34
	global_load_dwordx4 v[42:45], v34, s[4:5]
	global_load_dwordx2 v[46:47], v34, s[4:5] offset:16
	v_lshrrev_b32_e32 v52, 16, v11
	v_lshrrev_b32_e32 v50, 16, v2
	;; [unrolled: 1-line block ×4, first 2 shown]
	s_movk_i32 s6, 0x2b26
	s_mov_b32 s7, 0xbb00
	s_mov_b32 s10, 0xbcab
	s_movk_i32 s11, 0x39e0
	s_mov_b32 s12, 0xb9e0
	s_mov_b32 s13, 0xb574
	s_movk_i32 s15, 0x3574
	s_mov_b32 s14, 0xb70e
	s_movk_i32 s16, 0x9a
	s_waitcnt lgkmcnt(0)
	s_barrier
	s_waitcnt vmcnt(3)
	v_mul_f16_sdwa v34, v32, v36 dst_sel:DWORD dst_unused:UNUSED_PAD src0_sel:DWORD src1_sel:WORD_1
	v_mul_f16_sdwa v35, v21, v36 dst_sel:DWORD dst_unused:UNUSED_PAD src0_sel:DWORD src1_sel:WORD_1
	;; [unrolled: 1-line block ×3, first 2 shown]
	s_waitcnt vmcnt(2)
	v_mul_f16_sdwa v60, v26, v40 dst_sel:DWORD dst_unused:UNUSED_PAD src0_sel:DWORD src1_sel:WORD_1
	v_mul_f16_sdwa v62, v25, v41 dst_sel:DWORD dst_unused:UNUSED_PAD src0_sel:DWORD src1_sel:WORD_1
	;; [unrolled: 1-line block ×9, first 2 shown]
	s_waitcnt vmcnt(1)
	v_mul_f16_sdwa v66, v52, v43 dst_sel:DWORD dst_unused:UNUSED_PAD src0_sel:DWORD src1_sel:WORD_1
	v_mul_f16_sdwa v70, v29, v45 dst_sel:DWORD dst_unused:UNUSED_PAD src0_sel:DWORD src1_sel:WORD_1
	v_fma_f16 v34, v21, v36, v34
	v_fma_f16 v36, v32, v36, -v35
	v_fma_f16 v35, v20, v37, v54
	v_fma_f16 v14, v14, v40, v60
	v_fma_f16 v13, v13, v41, v62
	v_mul_f16_sdwa v64, v51, v42 dst_sel:DWORD dst_unused:UNUSED_PAD src0_sel:DWORD src1_sel:WORD_1
	v_mul_f16_sdwa v65, v50, v42 dst_sel:DWORD dst_unused:UNUSED_PAD src0_sel:DWORD src1_sel:WORD_1
	v_mul_f16_sdwa v67, v3, v43 dst_sel:DWORD dst_unused:UNUSED_PAD src0_sel:DWORD src1_sel:WORD_1
	v_mul_f16_sdwa v68, v24, v44 dst_sel:DWORD dst_unused:UNUSED_PAD src0_sel:DWORD src1_sel:WORD_1
	v_mul_f16_sdwa v69, v53, v44 dst_sel:DWORD dst_unused:UNUSED_PAD src0_sel:DWORD src1_sel:WORD_1
	v_mul_f16_sdwa v71, v17, v45 dst_sel:DWORD dst_unused:UNUSED_PAD src0_sel:DWORD src1_sel:WORD_1
	s_waitcnt vmcnt(0)
	v_mul_f16_sdwa v72, v31, v46 dst_sel:DWORD dst_unused:UNUSED_PAD src0_sel:DWORD src1_sel:WORD_1
	v_mul_f16_sdwa v74, v33, v47 dst_sel:DWORD dst_unused:UNUSED_PAD src0_sel:DWORD src1_sel:WORD_1
	v_fma_f16 v37, v30, v37, -v55
	v_fma_f16 v18, v18, v38, v56
	v_fma_f16 v38, v28, v38, -v57
	v_fma_f16 v16, v16, v39, v58
	v_fma_f16 v39, v27, v39, -v59
	v_fma_f16 v40, v26, v40, -v61
	;; [unrolled: 1-line block ×3, first 2 shown]
	v_fma_f16 v21, v3, v43, v66
	v_fma_f16 v28, v17, v45, v70
	v_add_f16_e32 v3, v34, v13
	v_add_f16_e32 v17, v35, v14
	v_mul_f16_sdwa v73, v19, v46 dst_sel:DWORD dst_unused:UNUSED_PAD src0_sel:DWORD src1_sel:WORD_1
	v_mul_f16_sdwa v75, v15, v47 dst_sel:DWORD dst_unused:UNUSED_PAD src0_sel:DWORD src1_sel:WORD_1
	v_fma_f16 v20, v50, v42, v64
	v_fma_f16 v26, v51, v42, -v65
	v_fma_f16 v27, v52, v43, -v67
	v_fma_f16 v25, v53, v44, v68
	v_fma_f16 v24, v24, v44, -v69
	v_fma_f16 v30, v19, v46, v72
	v_fma_f16 v32, v15, v47, v74
	v_sub_f16_e32 v15, v36, v41
	v_sub_f16_e32 v19, v37, v40
	v_add_f16_e32 v42, v18, v16
	v_sub_f16_e32 v43, v39, v38
	v_add_f16_e32 v44, v17, v3
	v_fma_f16 v29, v29, v45, -v71
	v_fma_f16 v31, v31, v46, -v73
	;; [unrolled: 1-line block ×3, first 2 shown]
	v_sub_f16_e32 v45, v17, v3
	v_sub_f16_e32 v3, v3, v42
	v_sub_f16_e32 v17, v42, v17
	v_add_f16_e32 v46, v43, v19
	v_sub_f16_e32 v47, v43, v19
	v_sub_f16_e32 v19, v19, v15
	v_add_f16_e32 v42, v42, v44
	v_sub_f16_e32 v43, v15, v43
	v_add_f16_e32 v15, v46, v15
	v_mul_f16_e32 v3, 0x3a52, v3
	v_add_f16_e32 v12, v12, v42
	v_mul_f16_e32 v44, 0x2b26, v17
	v_mul_f16_e32 v46, 0x3846, v47
	v_mul_f16_e32 v47, 0xbb00, v19
	v_fma_f16 v42, v42, s10, v12
	v_fma_f16 v17, v17, s6, v3
	v_fma_f16 v44, v45, s11, -v44
	v_fma_f16 v3, v45, s12, -v3
	v_fma_f16 v45, v43, s13, v46
	v_fma_f16 v19, v19, s7, -v46
	v_fma_f16 v43, v43, s15, -v47
	v_add_f16_e32 v17, v17, v42
	v_add_f16_e32 v44, v44, v42
	;; [unrolled: 1-line block ×3, first 2 shown]
	v_fma_f16 v42, v15, s14, v45
	v_fma_f16 v19, v15, s14, v19
	v_fma_f16 v15, v15, s14, v43
	v_add_f16_e32 v45, v15, v3
	v_sub_f16_e32 v15, v3, v15
	v_mov_b32_e32 v3, 1
	v_add_f16_e32 v43, v42, v17
	v_sub_f16_e32 v46, v44, v19
	v_add_f16_e32 v19, v19, v44
	v_sub_f16_e32 v17, v17, v42
	v_mad_u32_u24 v42, v48, s16, 0
	v_lshlrev_b32_sdwa v44, v3, v49 dst_sel:DWORD dst_unused:UNUSED_PAD src0_sel:DWORD src1_sel:BYTE_0
	v_add3_u32 v42, v42, v44, v9
	ds_write_b16 v42, v12
	ds_write_b16 v42, v43 offset:22
	ds_write_b16 v42, v45 offset:44
	;; [unrolled: 1-line block ×6, first 2 shown]
	s_and_saveexec_b64 s[2:3], s[0:1]
	s_cbranch_execz .LBB0_18
; %bb.17:
	v_add_f16_e32 v12, v20, v32
	v_add_f16_e32 v19, v21, v30
	;; [unrolled: 1-line block ×4, first 2 shown]
	v_sub_f16_e32 v46, v29, v24
	v_sub_f16_e32 v48, v27, v31
	;; [unrolled: 1-line block ×4, first 2 shown]
	v_add_f16_e32 v15, v15, v45
	v_sub_f16_e32 v45, v26, v33
	v_sub_f16_e32 v49, v46, v48
	v_mul_f16_e32 v17, 0x3a52, v17
	v_mul_f16_e32 v44, 0x2b26, v43
	v_add_f16_e32 v2, v2, v15
	v_sub_f16_e32 v47, v45, v46
	v_mul_f16_e32 v49, 0x3846, v49
	v_add_f16_e32 v46, v46, v48
	v_sub_f16_e32 v12, v19, v12
	v_sub_f16_e32 v19, v48, v45
	v_fma_f16 v43, v43, s6, v17
	v_fma_f16 v15, v15, s10, v2
	;; [unrolled: 1-line block ×3, first 2 shown]
	v_add_f16_e32 v46, v46, v45
	v_fma_f16 v17, v12, s12, -v17
	v_mul_f16_e32 v45, 0xbb00, v19
	v_fma_f16 v19, v19, s7, -v49
	v_fma_f16 v12, v12, s11, -v44
	v_add_f16_e32 v43, v43, v15
	v_fma_f16 v50, v46, s14, v50
	v_fma_f16 v19, v46, s14, v19
	v_add_f16_e32 v12, v12, v15
	v_sub_f16_e32 v51, v43, v50
	v_add_f16_e32 v17, v17, v15
	v_fma_f16 v45, v47, s15, -v45
	v_add_f16_e32 v15, v19, v12
	v_sub_f16_e32 v12, v12, v19
	v_add_f16_e32 v19, v50, v43
	v_mad_u32_u24 v43, v22, s16, 0
	v_lshlrev_b32_sdwa v3, v3, v8 dst_sel:DWORD dst_unused:UNUSED_PAD src0_sel:DWORD src1_sel:BYTE_0
	v_fma_f16 v45, v46, s14, v45
	v_add3_u32 v3, v43, v3, v9
	v_sub_f16_e32 v47, v17, v45
	v_add_f16_e32 v17, v45, v17
	ds_write_b16 v3, v2
	ds_write_b16 v3, v19 offset:22
	ds_write_b16 v3, v17 offset:44
	;; [unrolled: 1-line block ×6, first 2 shown]
.LBB0_18:
	s_or_b64 exec, exec, s[2:3]
	v_add_f16_e32 v2, v36, v41
	v_add_f16_e32 v12, v37, v40
	v_sub_f16_e32 v3, v34, v13
	v_sub_f16_e32 v13, v35, v14
	v_add_f16_e32 v14, v38, v39
	v_sub_f16_e32 v15, v16, v18
	v_add_f16_e32 v16, v12, v2
	v_sub_f16_e32 v17, v12, v2
	v_sub_f16_e32 v2, v2, v14
	;; [unrolled: 1-line block ×3, first 2 shown]
	v_add_f16_e32 v18, v15, v13
	v_sub_f16_e32 v19, v15, v13
	v_sub_f16_e32 v13, v13, v3
	v_add_f16_e32 v14, v14, v16
	v_sub_f16_e32 v15, v3, v15
	v_add_f16_e32 v3, v18, v3
	v_add_f16_e32 v34, v23, v14
	v_mul_f16_e32 v2, 0x3a52, v2
	v_mul_f16_e32 v16, 0x2b26, v12
	;; [unrolled: 1-line block ×4, first 2 shown]
	v_fma_f16 v14, v14, s10, v34
	v_fma_f16 v12, v12, s6, v2
	v_fma_f16 v16, v17, s11, -v16
	v_fma_f16 v2, v17, s12, -v2
	v_fma_f16 v17, v15, s13, v18
	v_fma_f16 v13, v13, s7, -v18
	v_fma_f16 v15, v15, s15, -v19
	v_add_f16_e32 v12, v12, v14
	v_add_f16_e32 v16, v16, v14
	;; [unrolled: 1-line block ×3, first 2 shown]
	v_fma_f16 v14, v3, s14, v17
	v_fma_f16 v13, v3, s14, v13
	;; [unrolled: 1-line block ×3, first 2 shown]
	v_sub_f16_e32 v35, v12, v14
	v_sub_f16_e32 v36, v2, v3
	v_add_f16_e32 v37, v13, v16
	v_sub_f16_e32 v38, v16, v13
	v_add_f16_e32 v39, v3, v2
	v_add_f16_e32 v40, v14, v12
	s_waitcnt lgkmcnt(0)
	s_barrier
	v_add3_u32 v23, 0, v10, v9
	ds_read_u16 v2, v5
	ds_read_u16 v15, v4 offset:308
	ds_read_u16 v13, v4 offset:462
	;; [unrolled: 1-line block ×8, first 2 shown]
	ds_read_u16 v18, v23
	ds_read_u16 v19, v4 offset:1540
	s_waitcnt lgkmcnt(0)
	s_barrier
	ds_write_b16 v42, v34
	ds_write_b16 v42, v35 offset:22
	ds_write_b16 v42, v36 offset:44
	;; [unrolled: 1-line block ×6, first 2 shown]
	s_and_saveexec_b64 s[2:3], s[0:1]
	s_cbranch_execz .LBB0_20
; %bb.19:
	v_add_f16_e32 v26, v26, v33
	v_add_f16_e32 v27, v27, v31
	;; [unrolled: 1-line block ×3, first 2 shown]
	v_sub_f16_e32 v25, v28, v25
	v_add_f16_e32 v28, v27, v26
	v_sub_f16_e32 v29, v27, v26
	v_sub_f16_e32 v26, v26, v24
	;; [unrolled: 1-line block ×3, first 2 shown]
	v_mul_f16_e32 v26, 0x3a52, v26
	s_movk_i32 s0, 0x2b26
	v_sub_f16_e32 v21, v21, v30
	v_add_f16_e32 v24, v24, v28
	v_mul_f16_e32 v28, 0x2b26, v27
	v_fma_f16 v27, v27, s0, v26
	s_movk_i32 s0, 0x39e0
	v_sub_f16_e32 v20, v20, v32
	v_add_f16_e32 v30, v25, v21
	v_sub_f16_e32 v31, v25, v21
	v_fma_f16 v28, v29, s0, -v28
	s_mov_b32 s0, 0xb9e0
	v_sub_f16_e32 v25, v20, v25
	v_sub_f16_e32 v21, v21, v20
	v_add_f16_e32 v20, v30, v20
	v_mul_f16_e32 v30, 0x3846, v31
	v_fma_f16 v26, v29, s0, -v26
	s_mov_b32 s0, 0xb574
	v_add_f16_e32 v11, v11, v24
	s_mov_b32 s1, 0xbb00
	v_mul_f16_e32 v31, 0xbb00, v21
	s_mov_b32 s6, 0xbcab
	v_fma_f16 v29, v25, s0, v30
	s_movk_i32 s0, 0x3574
	v_fma_f16 v24, v24, s6, v11
	v_fma_f16 v21, v21, s1, -v30
	v_fma_f16 v25, v25, s0, -v31
	s_mov_b32 s0, 0xb70e
	v_add_f16_e32 v27, v27, v24
	v_add_f16_e32 v28, v28, v24
	v_add_f16_e32 v24, v26, v24
	v_fma_f16 v26, v20, s0, v29
	v_fma_f16 v21, v20, s0, v21
	;; [unrolled: 1-line block ×3, first 2 shown]
	v_sub_f16_e32 v25, v27, v26
	v_sub_f16_e32 v29, v24, v20
	v_add_f16_e32 v20, v20, v24
	v_add_f16_e32 v24, v26, v27
	s_movk_i32 s0, 0x9a
	v_mov_b32_e32 v26, 1
	v_mad_u32_u24 v22, v22, s0, 0
	v_lshlrev_b32_sdwa v8, v26, v8 dst_sel:DWORD dst_unused:UNUSED_PAD src0_sel:DWORD src1_sel:BYTE_0
	v_add3_u32 v8, v22, v8, v9
	v_add_f16_e32 v30, v21, v28
	v_sub_f16_e32 v21, v28, v21
	ds_write_b16 v8, v11
	ds_write_b16 v8, v25 offset:22
	ds_write_b16 v8, v29 offset:44
	;; [unrolled: 1-line block ×6, first 2 shown]
.LBB0_20:
	s_or_b64 exec, exec, s[2:3]
	s_waitcnt lgkmcnt(0)
	s_barrier
	s_and_saveexec_b64 s[0:1], vcc
	s_cbranch_execz .LBB0_22
; %bb.21:
	v_mul_u32_u24_e32 v7, 10, v7
	v_lshlrev_b32_e32 v7, 2, v7
	global_load_dwordx4 v[24:27], v7, s[4:5] offset:264
	global_load_dwordx2 v[8:9], v7, s[4:5] offset:296
	global_load_dwordx4 v[28:31], v7, s[4:5] offset:280
	ds_read_u16 v7, v23
	ds_read_u16 v11, v4 offset:1540
	ds_read_u16 v20, v4 offset:1386
	ds_read_u16 v5, v5
	ds_read_u16 v21, v4 offset:308
	ds_read_u16 v22, v4 offset:462
	;; [unrolled: 1-line block ×7, first 2 shown]
	s_movk_i32 s0, 0x36a6
	s_mov_b32 s1, 0xb93d
	s_mov_b32 s2, 0xbbad
	;; [unrolled: 1-line block ×3, first 2 shown]
	s_movk_i32 s4, 0x3abb
	s_movk_i32 s5, 0x3482
	s_mov_b32 s6, 0xb853
	s_movk_i32 s7, 0x3a0c
	s_movk_i32 s12, 0x3853
	;; [unrolled: 1-line block ×3, first 2 shown]
	s_mov_b32 s10, 0xbb47
	s_movk_i32 s11, 0x3beb
	s_waitcnt vmcnt(2)
	v_lshrrev_b32_e32 v35, 16, v24
	v_mul_f16_e32 v39, v18, v24
	s_waitcnt vmcnt(1)
	v_lshrrev_b32_e32 v41, 16, v9
	v_mul_f16_e32 v42, v19, v9
	v_lshrrev_b32_e32 v36, 16, v25
	v_lshrrev_b32_e32 v37, 16, v26
	;; [unrolled: 1-line block ×3, first 2 shown]
	v_mul_f16_e32 v43, v15, v25
	v_mul_f16_e32 v44, v17, v8
	;; [unrolled: 1-line block ×3, first 2 shown]
	s_waitcnt vmcnt(0)
	v_lshrrev_b32_e32 v47, 16, v29
	s_waitcnt lgkmcnt(10)
	v_fma_f16 v39, v7, v35, v39
	s_waitcnt lgkmcnt(9)
	v_fma_f16 v42, v11, v41, v42
	v_mul_f16_e32 v19, v19, v41
	v_mul_f16_e32 v18, v18, v35
	v_lshrrev_b32_e32 v49, 16, v31
	v_mul_f16_e32 v50, v16, v31
	v_mul_f16_e32 v54, v10, v29
	s_waitcnt lgkmcnt(6)
	v_fma_f16 v35, v21, v36, v43
	v_fma_f16 v41, v20, v40, v44
	v_mul_f16_e32 v17, v17, v40
	v_mul_f16_e32 v15, v15, v36
	s_waitcnt lgkmcnt(5)
	v_fma_f16 v36, v22, v37, v45
	v_mul_f16_e32 v10, v10, v47
	v_sub_f16_e32 v45, v39, v42
	v_fma_f16 v9, v11, v9, -v19
	v_fma_f16 v7, v7, v24, -v18
	v_lshrrev_b32_e32 v38, 16, v27
	v_lshrrev_b32_e32 v48, 16, v30
	v_mul_f16_e32 v51, v12, v27
	v_mul_f16_e32 v52, v14, v30
	s_waitcnt lgkmcnt(2)
	v_fma_f16 v40, v33, v49, v50
	v_mul_f16_e32 v16, v16, v49
	v_mul_f16_e32 v13, v13, v37
	s_waitcnt lgkmcnt(0)
	v_fma_f16 v44, v4, v47, v54
	v_sub_f16_e32 v11, v35, v41
	v_fma_f16 v8, v20, v8, -v17
	v_fma_f16 v15, v21, v25, -v15
	;; [unrolled: 1-line block ×3, first 2 shown]
	v_mul_f16_e32 v10, 0xbb47, v45
	v_add_f16_e32 v20, v7, v9
	v_lshrrev_b32_e32 v46, 16, v28
	v_mul_f16_e32 v53, v3, v28
	v_fma_f16 v37, v23, v38, v51
	v_fma_f16 v43, v34, v48, v52
	v_mul_f16_e32 v14, v14, v48
	v_mul_f16_e32 v12, v12, v38
	v_sub_f16_e32 v17, v36, v40
	v_fma_f16 v16, v33, v31, -v16
	v_fma_f16 v13, v22, v26, -v13
	v_mul_f16_e32 v21, 0xba0c, v11
	v_add_f16_e32 v22, v15, v8
	v_fma_f16 v29, v20, s0, v10
	v_fma_f16 v38, v32, v46, v53
	v_mul_f16_e32 v3, v3, v46
	v_sub_f16_e32 v18, v37, v43
	v_fma_f16 v14, v34, v30, -v14
	v_fma_f16 v12, v23, v27, -v12
	v_mul_f16_e32 v23, 0x3482, v17
	v_add_f16_e32 v24, v13, v16
	v_fma_f16 v30, v22, s1, v21
	v_add_f16_e32 v29, v5, v29
	v_sub_f16_e32 v19, v38, v44
	v_mul_f16_e32 v25, 0x3beb, v18
	v_add_f16_e32 v26, v12, v14
	v_fma_f16 v31, v24, s2, v23
	v_add_f16_e32 v29, v29, v30
	v_fma_f16 v3, v32, v28, -v3
	v_mul_f16_e32 v27, 0x3853, v19
	v_fma_f16 v33, v26, s3, v25
	v_add_f16_e32 v29, v29, v31
	v_add_f16_e32 v28, v3, v4
	;; [unrolled: 1-line block ×3, first 2 shown]
	v_fma_f16 v30, v28, s4, v27
	v_sub_f16_e32 v31, v7, v9
	v_add_f16_e32 v29, v29, v30
	v_add_f16_e32 v30, v39, v42
	v_mul_f16_e32 v32, 0xbb47, v31
	v_sub_f16_e32 v46, v15, v8
	v_fma_f16 v33, v30, s0, -v32
	v_add_f16_e32 v34, v35, v41
	v_mul_f16_e32 v47, 0xba0c, v46
	v_add_f16_e32 v33, v2, v33
	v_fma_f16 v48, v34, s1, -v47
	v_sub_f16_e32 v49, v13, v16
	v_add_f16_e32 v33, v33, v48
	v_add_f16_e32 v48, v36, v40
	v_mul_f16_e32 v50, 0x3482, v49
	v_fma_f16 v51, v48, s2, -v50
	v_sub_f16_e32 v52, v12, v14
	v_add_f16_e32 v33, v33, v51
	v_add_f16_e32 v51, v37, v43
	v_mul_f16_e32 v53, 0x3beb, v52
	;; [unrolled: 5-line block ×3, first 2 shown]
	v_fma_f16 v57, v54, s4, -v56
	v_add_f16_e32 v33, v33, v57
	v_mul_f16_e32 v57, 0xbbeb, v45
	v_fma_f16 v58, v20, s3, v57
	v_mul_f16_e32 v59, 0x3482, v11
	v_add_f16_e32 v58, v5, v58
	v_fma_f16 v60, v22, s2, v59
	v_add_f16_e32 v58, v58, v60
	v_mul_f16_e32 v60, 0x3b47, v17
	v_fma_f16 v61, v24, s0, v60
	v_add_f16_e32 v58, v58, v61
	v_mul_f16_e32 v61, 0xb853, v18
	;; [unrolled: 3-line block ×4, first 2 shown]
	v_fma_f16 v64, v30, s3, -v63
	v_mul_f16_e32 v65, 0x3482, v46
	v_add_f16_e32 v64, v2, v64
	v_fma_f16 v66, v34, s2, -v65
	v_add_f16_e32 v64, v64, v66
	v_mul_f16_e32 v66, 0x3b47, v49
	v_fma_f16 v67, v48, s0, -v66
	v_add_f16_e32 v64, v64, v67
	v_mul_f16_e32 v67, 0xb853, v52
	;; [unrolled: 3-line block ×4, first 2 shown]
	v_fma_f16 v70, v20, s1, v69
	v_mul_f16_e32 v71, 0x3beb, v11
	v_add_f16_e32 v70, v5, v70
	v_fma_f16 v72, v22, s3, v71
	v_add_f16_e32 v70, v70, v72
	v_mul_f16_e32 v72, 0xb853, v17
	v_fma_f16 v73, v24, s4, v72
	v_add_f16_e32 v70, v70, v73
	v_mul_f16_e32 v73, 0xb482, v18
	v_fma_f16 v74, v26, s2, v73
	v_add_f16_e32 v70, v70, v74
	v_mul_f16_e32 v74, 0x3b47, v19
	v_fma_f16 v75, v28, s0, v74
	v_add_f16_e32 v70, v70, v75
	v_mul_f16_e32 v75, 0xba0c, v31
	v_fma_f16 v76, v30, s1, -v75
	v_mul_f16_e32 v77, 0x3beb, v46
	v_add_f16_e32 v76, v2, v76
	v_fma_f16 v78, v34, s3, -v77
	v_add_f16_e32 v76, v76, v78
	v_mul_f16_e32 v78, 0xb853, v49
	v_fma_f16 v10, v20, s0, -v10
	v_fma_f16 v79, v48, s4, -v78
	v_add_f16_e32 v10, v5, v10
	v_fma_f16 v21, v22, s1, -v21
	v_add_f16_e32 v76, v76, v79
	v_mul_f16_e32 v79, 0xb482, v52
	v_add_f16_e32 v10, v10, v21
	v_fma_f16 v21, v24, s2, -v23
	v_fma_f16 v80, v51, s2, -v79
	v_add_f16_e32 v10, v10, v21
	v_fma_f16 v21, v26, s3, -v25
	v_add_f16_e32 v76, v76, v80
	v_mul_f16_e32 v80, 0x3b47, v55
	v_add_f16_e32 v10, v10, v21
	v_fma_f16 v21, v28, s4, -v27
	v_fma_f16 v81, v54, s0, -v80
	v_add_f16_e32 v10, v10, v21
	v_fma_f16 v21, v30, s0, v32
	v_add_f16_e32 v76, v76, v81
	v_mul_f16_e32 v81, 0xbbad, v20
	v_add_f16_e32 v21, v2, v21
	v_fma_f16 v23, v34, s1, v47
	v_add_f16_e32 v7, v7, v5
	v_fma_f16 v82, v45, s5, v81
	v_mul_f16_e32 v83, 0x3abb, v22
	v_add_f16_e32 v21, v21, v23
	v_fma_f16 v23, v48, s2, v50
	v_add_f16_e32 v7, v7, v15
	v_add_f16_e32 v82, v5, v82
	v_fma_f16 v84, v11, s6, v83
	v_add_f16_e32 v21, v21, v23
	v_fma_f16 v23, v51, s3, v53
	v_add_f16_e32 v7, v7, v13
	v_add_f16_e32 v82, v82, v84
	v_mul_f16_e32 v84, 0xb93d, v24
	v_fma_f16 v69, v20, s1, -v69
	v_fma_f16 v57, v20, s3, -v57
	v_add_f16_e32 v21, v21, v23
	v_fma_f16 v23, v54, s4, v56
	v_mul_f16_e32 v20, 0x3abb, v20
	v_add_f16_e32 v7, v7, v12
	v_fma_f16 v85, v17, s7, v84
	v_add_f16_e32 v69, v5, v69
	v_fma_f16 v71, v22, s3, -v71
	v_add_f16_e32 v57, v5, v57
	v_fma_f16 v59, v22, s2, -v59
	v_add_f16_e32 v21, v21, v23
	v_fma_f16 v23, v45, s12, v20
	v_mul_f16_e32 v22, 0x36a6, v22
	v_add_f16_e32 v3, v7, v3
	v_add_f16_e32 v82, v82, v85
	v_mul_f16_e32 v85, 0x36a6, v26
	v_add_f16_e32 v69, v69, v71
	v_fma_f16 v71, v24, s4, -v72
	v_add_f16_e32 v57, v57, v59
	v_fma_f16 v59, v24, s0, -v60
	v_add_f16_e32 v23, v5, v23
	v_fma_f16 v25, v11, s13, v22
	v_mul_f16_e32 v24, 0xb08e, v24
	v_add_f16_e32 v3, v3, v4
	v_fma_f16 v86, v18, s10, v85
	v_add_f16_e32 v23, v23, v25
	v_fma_f16 v25, v17, s11, v24
	v_add_f16_e32 v3, v14, v3
	v_add_f16_e32 v82, v82, v86
	v_mul_f16_e32 v86, 0xb08e, v28
	v_add_f16_e32 v23, v23, v25
	v_mul_f16_e32 v25, 0xb93d, v26
	v_add_f16_e32 v3, v16, v3
	v_fma_f16 v87, v19, s11, v86
	v_add_f16_e32 v69, v69, v71
	v_fma_f16 v71, v26, s2, -v73
	v_add_f16_e32 v57, v57, v59
	v_fma_f16 v59, v26, s4, -v61
	v_fma_f16 v26, v18, s7, v25
	s_mov_b32 s11, 0xb482
	v_add_f16_e32 v3, v8, v3
	v_add_f16_e32 v23, v23, v26
	v_mul_f16_e32 v26, 0xbbad, v28
	v_add_f16_e32 v7, v9, v3
	v_fma_f16 v3, v45, s11, v81
	v_add_f16_e32 v82, v82, v87
	v_mul_f16_e32 v87, 0xb482, v31
	v_fma_f16 v27, v19, s5, v26
	s_mov_b32 s5, 0xba0c
	v_add_f16_e32 v3, v5, v3
	v_fma_f16 v4, v11, s12, v83
	v_fma_f16 v88, v30, s2, v87
	v_mul_f16_e32 v89, 0x3853, v46
	v_add_f16_e32 v3, v3, v4
	v_fma_f16 v4, v17, s5, v84
	v_add_f16_e32 v88, v2, v88
	v_fma_f16 v90, v34, s4, v89
	s_mov_b32 s7, 0xbbeb
	v_add_f16_e32 v3, v3, v4
	v_fma_f16 v4, v18, s13, v85
	v_add_f16_e32 v88, v88, v90
	v_mul_f16_e32 v90, 0xba0c, v49
	v_add_f16_e32 v3, v3, v4
	v_fma_f16 v4, v19, s7, v86
	v_fma_f16 v91, v48, s1, v90
	v_add_f16_e32 v8, v3, v4
	v_fma_f16 v3, v30, s2, -v87
	v_add_f16_e32 v88, v88, v91
	v_mul_f16_e32 v91, 0x3b47, v52
	v_add_f16_e32 v3, v2, v3
	v_fma_f16 v4, v34, s4, -v89
	v_fma_f16 v92, v51, s0, v91
	v_add_f16_e32 v3, v3, v4
	v_fma_f16 v4, v48, s1, -v90
	v_add_f16_e32 v88, v88, v92
	v_mul_f16_e32 v92, 0xbbeb, v55
	v_add_f16_e32 v3, v3, v4
	v_fma_f16 v4, v51, s0, -v91
	v_add_f16_e32 v3, v3, v4
	v_fma_f16 v4, v54, s3, -v92
	v_add_f16_e32 v9, v3, v4
	v_fma_f16 v3, v45, s6, v20
	v_add_f16_e32 v23, v23, v27
	v_mul_f16_e32 v27, 0xb853, v31
	v_add_f16_e32 v3, v5, v3
	v_fma_f16 v4, v11, s10, v22
	v_add_f16_e32 v69, v69, v71
	v_fma_f16 v71, v28, s0, -v74
	v_add_f16_e32 v57, v57, v59
	v_fma_f16 v59, v28, s1, -v62
	v_fma_f16 v28, v30, s4, v27
	v_mul_f16_e32 v31, 0xbb47, v46
	v_add_f16_e32 v3, v3, v4
	v_fma_f16 v4, v17, s7, v24
	v_add_f16_e32 v28, v2, v28
	v_fma_f16 v32, v34, s0, v31
	;; [unrolled: 2-line block ×3, first 2 shown]
	v_add_f16_e32 v28, v28, v32
	v_mul_f16_e32 v32, 0xbbeb, v49
	v_add_f16_e32 v39, v2, v39
	v_add_f16_e32 v3, v3, v4
	v_fma_f16 v4, v19, s11, v26
	v_add_f16_e32 v69, v69, v71
	v_fma_f16 v71, v30, s1, v75
	v_add_f16_e32 v57, v57, v59
	v_fma_f16 v59, v30, s3, v63
	v_fma_f16 v46, v48, s3, v32
	v_add_f16_e32 v35, v39, v35
	v_add_f16_e32 v11, v3, v4
	v_fma_f16 v3, v30, s4, -v27
	v_add_f16_e32 v71, v2, v71
	v_add_f16_e32 v59, v2, v59
	;; [unrolled: 1-line block ×3, first 2 shown]
	v_mul_f16_e32 v46, 0xba0c, v52
	v_add_f16_e32 v35, v35, v36
	v_add_f16_e32 v2, v2, v3
	v_fma_f16 v3, v34, s0, -v31
	v_fma_f16 v72, v34, s3, v77
	v_fma_f16 v60, v34, s2, v65
	;; [unrolled: 1-line block ×3, first 2 shown]
	v_add_f16_e32 v35, v35, v37
	v_add_f16_e32 v2, v2, v3
	v_fma_f16 v3, v48, s3, -v32
	v_add_f16_e32 v71, v71, v72
	v_fma_f16 v72, v48, s4, v78
	v_add_f16_e32 v59, v59, v60
	v_fma_f16 v60, v48, s0, v66
	v_add_f16_e32 v28, v28, v47
	v_mul_f16_e32 v47, 0xb482, v55
	v_add_f16_e32 v35, v35, v38
	v_add_f16_e32 v2, v2, v3
	v_fma_f16 v3, v51, s1, -v46
	v_add_f16_e32 v71, v71, v72
	v_fma_f16 v72, v51, s2, v79
	v_add_f16_e32 v59, v59, v60
	v_fma_f16 v60, v51, s4, v67
	v_add_f16_e32 v35, v35, v44
	v_add_f16_e32 v2, v2, v3
	v_fma_f16 v3, v54, s2, -v47
	v_add_f16_e32 v71, v71, v72
	v_fma_f16 v72, v54, s0, v80
	v_add_f16_e32 v59, v59, v60
	v_fma_f16 v60, v54, s1, v68
	v_add_f16_e32 v35, v43, v35
	v_add_f16_e32 v12, v2, v3
	v_mad_u64_u32 v[2:3], s[0:1], s8, v6, 0
	v_add_f16_e32 v35, v40, v35
	v_mov_b32_e32 v4, v3
	v_add_f16_e32 v35, v41, v35
	v_mad_u64_u32 v[4:5], s[0:1], s9, v6, v[4:5]
	v_add_f16_e32 v35, v42, v35
	v_mov_b32_e32 v3, v4
	v_lshl_add_u64 v[2:3], v[2:3], 2, v[0:1]
	v_pack_b32_f16 v4, v35, v7
	v_add_u32_e32 v5, 0x4d, v6
	global_store_dword v[2:3], v4, off
	v_mad_u64_u32 v[2:3], s[0:1], s8, v5, 0
	v_mov_b32_e32 v4, v3
	v_fma_f16 v49, v54, s2, v47
	v_mad_u64_u32 v[4:5], s[0:1], s9, v5, v[4:5]
	v_add_f16_e32 v28, v28, v49
	v_mov_b32_e32 v3, v4
	v_lshl_add_u64 v[2:3], v[2:3], 2, v[0:1]
	v_pack_b32_f16 v4, v28, v23
	v_add_u32_e32 v5, 0x9a, v6
	global_store_dword v[2:3], v4, off
	v_mad_u64_u32 v[2:3], s[0:1], s8, v5, 0
	v_mov_b32_e32 v4, v3
	v_mad_u64_u32 v[4:5], s[0:1], s9, v5, v[4:5]
	v_mov_b32_e32 v3, v4
	v_lshl_add_u64 v[2:3], v[2:3], 2, v[0:1]
	v_pack_b32_f16 v4, v21, v10
	v_add_u32_e32 v5, 0xe7, v6
	global_store_dword v[2:3], v4, off
	v_mad_u64_u32 v[2:3], s[0:1], s8, v5, 0
	v_mov_b32_e32 v4, v3
	v_mad_u64_u32 v[4:5], s[0:1], s9, v5, v[4:5]
	v_add_f16_e32 v59, v59, v60
	v_mov_b32_e32 v3, v4
	v_lshl_add_u64 v[2:3], v[2:3], 2, v[0:1]
	v_pack_b32_f16 v4, v59, v57
	v_add_u32_e32 v5, 0x134, v6
	global_store_dword v[2:3], v4, off
	v_mad_u64_u32 v[2:3], s[0:1], s8, v5, 0
	v_mov_b32_e32 v4, v3
	v_mad_u64_u32 v[4:5], s[0:1], s9, v5, v[4:5]
	v_add_f16_e32 v71, v71, v72
	v_mov_b32_e32 v3, v4
	v_lshl_add_u64 v[2:3], v[2:3], 2, v[0:1]
	v_pack_b32_f16 v4, v71, v69
	v_add_u32_e32 v5, 0x181, v6
	global_store_dword v[2:3], v4, off
	v_mad_u64_u32 v[2:3], s[0:1], s8, v5, 0
	v_mov_b32_e32 v4, v3
	v_fma_f16 v93, v54, s3, v92
	v_mad_u64_u32 v[4:5], s[0:1], s9, v5, v[4:5]
	v_add_f16_e32 v88, v88, v93
	v_mov_b32_e32 v3, v4
	v_lshl_add_u64 v[2:3], v[2:3], 2, v[0:1]
	v_pack_b32_f16 v4, v88, v82
	v_add_u32_e32 v5, 0x1ce, v6
	global_store_dword v[2:3], v4, off
	v_mad_u64_u32 v[2:3], s[0:1], s8, v5, 0
	v_mov_b32_e32 v4, v3
	v_mad_u64_u32 v[4:5], s[0:1], s9, v5, v[4:5]
	v_mov_b32_e32 v3, v4
	v_lshl_add_u64 v[2:3], v[2:3], 2, v[0:1]
	v_pack_b32_f16 v4, v9, v8
	v_add_u32_e32 v5, 0x21b, v6
	global_store_dword v[2:3], v4, off
	v_mad_u64_u32 v[2:3], s[0:1], s8, v5, 0
	v_mov_b32_e32 v4, v3
	v_mad_u64_u32 v[4:5], s[0:1], s9, v5, v[4:5]
	;; [unrolled: 8-line block ×5, first 2 shown]
	v_mov_b32_e32 v3, v4
	v_lshl_add_u64 v[0:1], v[2:3], 2, v[0:1]
	v_pack_b32_f16 v2, v12, v11
	global_store_dword v[0:1], v2, off
.LBB0_22:
	s_endpgm
	.section	.rodata,"a",@progbits
	.p2align	6, 0x0
	.amdhsa_kernel fft_rtc_back_len847_factors_11_7_11_wgs_231_tpt_77_halfLds_half_ip_CI_sbrr_dirReg
		.amdhsa_group_segment_fixed_size 0
		.amdhsa_private_segment_fixed_size 0
		.amdhsa_kernarg_size 88
		.amdhsa_user_sgpr_count 2
		.amdhsa_user_sgpr_dispatch_ptr 0
		.amdhsa_user_sgpr_queue_ptr 0
		.amdhsa_user_sgpr_kernarg_segment_ptr 1
		.amdhsa_user_sgpr_dispatch_id 0
		.amdhsa_user_sgpr_kernarg_preload_length 0
		.amdhsa_user_sgpr_kernarg_preload_offset 0
		.amdhsa_user_sgpr_private_segment_size 0
		.amdhsa_uses_dynamic_stack 0
		.amdhsa_enable_private_segment 0
		.amdhsa_system_sgpr_workgroup_id_x 1
		.amdhsa_system_sgpr_workgroup_id_y 0
		.amdhsa_system_sgpr_workgroup_id_z 0
		.amdhsa_system_sgpr_workgroup_info 0
		.amdhsa_system_vgpr_workitem_id 0
		.amdhsa_next_free_vgpr 94
		.amdhsa_next_free_sgpr 29
		.amdhsa_accum_offset 96
		.amdhsa_reserve_vcc 1
		.amdhsa_float_round_mode_32 0
		.amdhsa_float_round_mode_16_64 0
		.amdhsa_float_denorm_mode_32 3
		.amdhsa_float_denorm_mode_16_64 3
		.amdhsa_dx10_clamp 1
		.amdhsa_ieee_mode 1
		.amdhsa_fp16_overflow 0
		.amdhsa_tg_split 0
		.amdhsa_exception_fp_ieee_invalid_op 0
		.amdhsa_exception_fp_denorm_src 0
		.amdhsa_exception_fp_ieee_div_zero 0
		.amdhsa_exception_fp_ieee_overflow 0
		.amdhsa_exception_fp_ieee_underflow 0
		.amdhsa_exception_fp_ieee_inexact 0
		.amdhsa_exception_int_div_zero 0
	.end_amdhsa_kernel
	.text
.Lfunc_end0:
	.size	fft_rtc_back_len847_factors_11_7_11_wgs_231_tpt_77_halfLds_half_ip_CI_sbrr_dirReg, .Lfunc_end0-fft_rtc_back_len847_factors_11_7_11_wgs_231_tpt_77_halfLds_half_ip_CI_sbrr_dirReg
                                        ; -- End function
	.section	.AMDGPU.csdata,"",@progbits
; Kernel info:
; codeLenInByte = 9172
; NumSgprs: 35
; NumVgprs: 94
; NumAgprs: 0
; TotalNumVgprs: 94
; ScratchSize: 0
; MemoryBound: 0
; FloatMode: 240
; IeeeMode: 1
; LDSByteSize: 0 bytes/workgroup (compile time only)
; SGPRBlocks: 4
; VGPRBlocks: 11
; NumSGPRsForWavesPerEU: 35
; NumVGPRsForWavesPerEU: 94
; AccumOffset: 96
; Occupancy: 5
; WaveLimiterHint : 1
; COMPUTE_PGM_RSRC2:SCRATCH_EN: 0
; COMPUTE_PGM_RSRC2:USER_SGPR: 2
; COMPUTE_PGM_RSRC2:TRAP_HANDLER: 0
; COMPUTE_PGM_RSRC2:TGID_X_EN: 1
; COMPUTE_PGM_RSRC2:TGID_Y_EN: 0
; COMPUTE_PGM_RSRC2:TGID_Z_EN: 0
; COMPUTE_PGM_RSRC2:TIDIG_COMP_CNT: 0
; COMPUTE_PGM_RSRC3_GFX90A:ACCUM_OFFSET: 23
; COMPUTE_PGM_RSRC3_GFX90A:TG_SPLIT: 0
	.text
	.p2alignl 6, 3212836864
	.fill 256, 4, 3212836864
	.type	__hip_cuid_7dab68ba828635bf,@object ; @__hip_cuid_7dab68ba828635bf
	.section	.bss,"aw",@nobits
	.globl	__hip_cuid_7dab68ba828635bf
__hip_cuid_7dab68ba828635bf:
	.byte	0                               ; 0x0
	.size	__hip_cuid_7dab68ba828635bf, 1

	.ident	"AMD clang version 19.0.0git (https://github.com/RadeonOpenCompute/llvm-project roc-6.4.0 25133 c7fe45cf4b819c5991fe208aaa96edf142730f1d)"
	.section	".note.GNU-stack","",@progbits
	.addrsig
	.addrsig_sym __hip_cuid_7dab68ba828635bf
	.amdgpu_metadata
---
amdhsa.kernels:
  - .agpr_count:     0
    .args:
      - .actual_access:  read_only
        .address_space:  global
        .offset:         0
        .size:           8
        .value_kind:     global_buffer
      - .offset:         8
        .size:           8
        .value_kind:     by_value
      - .actual_access:  read_only
        .address_space:  global
        .offset:         16
        .size:           8
        .value_kind:     global_buffer
      - .actual_access:  read_only
        .address_space:  global
        .offset:         24
        .size:           8
        .value_kind:     global_buffer
      - .offset:         32
        .size:           8
        .value_kind:     by_value
      - .actual_access:  read_only
        .address_space:  global
        .offset:         40
        .size:           8
        .value_kind:     global_buffer
      - .actual_access:  read_only
        .address_space:  global
        .offset:         48
        .size:           8
        .value_kind:     global_buffer
      - .offset:         56
        .size:           4
        .value_kind:     by_value
      - .actual_access:  read_only
        .address_space:  global
        .offset:         64
        .size:           8
        .value_kind:     global_buffer
      - .actual_access:  read_only
        .address_space:  global
        .offset:         72
        .size:           8
        .value_kind:     global_buffer
      - .address_space:  global
        .offset:         80
        .size:           8
        .value_kind:     global_buffer
    .group_segment_fixed_size: 0
    .kernarg_segment_align: 8
    .kernarg_segment_size: 88
    .language:       OpenCL C
    .language_version:
      - 2
      - 0
    .max_flat_workgroup_size: 231
    .name:           fft_rtc_back_len847_factors_11_7_11_wgs_231_tpt_77_halfLds_half_ip_CI_sbrr_dirReg
    .private_segment_fixed_size: 0
    .sgpr_count:     35
    .sgpr_spill_count: 0
    .symbol:         fft_rtc_back_len847_factors_11_7_11_wgs_231_tpt_77_halfLds_half_ip_CI_sbrr_dirReg.kd
    .uniform_work_group_size: 1
    .uses_dynamic_stack: false
    .vgpr_count:     94
    .vgpr_spill_count: 0
    .wavefront_size: 64
amdhsa.target:   amdgcn-amd-amdhsa--gfx950
amdhsa.version:
  - 1
  - 2
...

	.end_amdgpu_metadata
